;; amdgpu-corpus repo=ROCm/rocFFT kind=compiled arch=gfx950 opt=O3
	.text
	.amdgcn_target "amdgcn-amd-amdhsa--gfx950"
	.amdhsa_code_object_version 6
	.protected	fft_rtc_back_len245_factors_7_5_7_wgs_245_tpt_35_sp_op_CI_CI_unitstride_sbrr_dirReg ; -- Begin function fft_rtc_back_len245_factors_7_5_7_wgs_245_tpt_35_sp_op_CI_CI_unitstride_sbrr_dirReg
	.globl	fft_rtc_back_len245_factors_7_5_7_wgs_245_tpt_35_sp_op_CI_CI_unitstride_sbrr_dirReg
	.p2align	8
	.type	fft_rtc_back_len245_factors_7_5_7_wgs_245_tpt_35_sp_op_CI_CI_unitstride_sbrr_dirReg,@function
fft_rtc_back_len245_factors_7_5_7_wgs_245_tpt_35_sp_op_CI_CI_unitstride_sbrr_dirReg: ; @fft_rtc_back_len245_factors_7_5_7_wgs_245_tpt_35_sp_op_CI_CI_unitstride_sbrr_dirReg
; %bb.0:
	s_load_dwordx4 s[4:7], s[0:1], 0x58
	s_load_dwordx4 s[8:11], s[0:1], 0x0
	;; [unrolled: 1-line block ×3, first 2 shown]
	v_mul_u32_u24_e32 v1, 0x751, v0
	v_lshrrev_b32_e32 v2, 16, v1
	v_mad_u64_u32 v[2:3], s[2:3], s2, 7, v[2:3]
	v_mov_b32_e32 v6, 0
	v_mov_b32_e32 v3, v6
	s_waitcnt lgkmcnt(0)
	v_cmp_lt_u64_e64 s[2:3], s[10:11], 2
	v_mov_b64_e32 v[4:5], 0
	s_and_b64 vcc, exec, s[2:3]
	v_mov_b64_e32 v[12:13], v[4:5]
	v_mov_b64_e32 v[14:15], v[2:3]
	s_cbranch_vccnz .LBB0_8
; %bb.1:
	s_load_dwordx2 s[2:3], s[0:1], 0x10
	s_add_u32 s16, s14, 8
	s_addc_u32 s17, s15, 0
	s_add_u32 s18, s12, 8
	s_addc_u32 s19, s13, 0
	s_waitcnt lgkmcnt(0)
	s_add_u32 s20, s2, 8
	v_mov_b64_e32 v[4:5], 0
	s_addc_u32 s21, s3, 0
	s_mov_b64 s[22:23], 1
	v_mov_b64_e32 v[12:13], v[4:5]
	v_mov_b64_e32 v[8:9], v[2:3]
.LBB0_2:                                ; =>This Inner Loop Header: Depth=1
	s_load_dwordx2 s[24:25], s[20:21], 0x0
                                        ; implicit-def: $vgpr14_vgpr15
	s_waitcnt lgkmcnt(0)
	v_or_b32_e32 v7, s25, v9
	v_cmp_ne_u64_e32 vcc, 0, v[6:7]
	s_and_saveexec_b64 s[2:3], vcc
	s_xor_b64 s[26:27], exec, s[2:3]
	s_cbranch_execz .LBB0_4
; %bb.3:                                ;   in Loop: Header=BB0_2 Depth=1
	v_cvt_f32_u32_e32 v1, s24
	v_cvt_f32_u32_e32 v3, s25
	s_sub_u32 s2, 0, s24
	s_subb_u32 s3, 0, s25
	v_fmac_f32_e32 v1, 0x4f800000, v3
	v_rcp_f32_e32 v1, v1
	s_nop 0
	v_mul_f32_e32 v1, 0x5f7ffffc, v1
	v_mul_f32_e32 v3, 0x2f800000, v1
	v_trunc_f32_e32 v3, v3
	v_fmac_f32_e32 v1, 0xcf800000, v3
	v_cvt_u32_f32_e32 v3, v3
	v_cvt_u32_f32_e32 v1, v1
	v_mul_lo_u32 v7, s2, v3
	v_mul_hi_u32 v10, s2, v1
	v_mul_lo_u32 v11, s3, v1
	v_add_u32_e32 v7, v10, v7
	v_mul_lo_u32 v16, s2, v1
	v_add_u32_e32 v7, v7, v11
	v_mul_hi_u32 v10, v1, v16
	v_mul_hi_u32 v15, v1, v7
	v_mul_lo_u32 v14, v1, v7
	v_mov_b32_e32 v11, v6
	v_lshl_add_u64 v[10:11], v[10:11], 0, v[14:15]
	v_mul_hi_u32 v15, v3, v16
	v_mul_lo_u32 v16, v3, v16
	v_add_co_u32_e32 v10, vcc, v10, v16
	v_mul_hi_u32 v14, v3, v7
	s_nop 0
	v_addc_co_u32_e32 v10, vcc, v11, v15, vcc
	v_mov_b32_e32 v11, v6
	s_nop 0
	v_addc_co_u32_e32 v15, vcc, 0, v14, vcc
	v_mul_lo_u32 v14, v3, v7
	v_lshl_add_u64 v[10:11], v[10:11], 0, v[14:15]
	v_add_co_u32_e32 v1, vcc, v1, v10
	v_mul_hi_u32 v10, s2, v1
	s_nop 0
	v_addc_co_u32_e32 v3, vcc, v3, v11, vcc
	v_mul_lo_u32 v7, s2, v3
	v_add_u32_e32 v7, v10, v7
	v_mul_lo_u32 v10, s3, v1
	v_add_u32_e32 v7, v7, v10
	v_mul_lo_u32 v14, s2, v1
	v_mul_hi_u32 v17, v3, v14
	v_mul_lo_u32 v18, v3, v14
	v_mul_hi_u32 v11, v1, v7
	;; [unrolled: 2-line block ×3, first 2 shown]
	v_mov_b32_e32 v15, v6
	v_lshl_add_u64 v[10:11], v[14:15], 0, v[10:11]
	v_add_co_u32_e32 v10, vcc, v10, v18
	v_mul_hi_u32 v16, v3, v7
	s_nop 0
	v_addc_co_u32_e32 v10, vcc, v11, v17, vcc
	v_mul_lo_u32 v14, v3, v7
	s_nop 0
	v_addc_co_u32_e32 v15, vcc, 0, v16, vcc
	v_mov_b32_e32 v11, v6
	v_lshl_add_u64 v[10:11], v[10:11], 0, v[14:15]
	v_add_co_u32_e32 v1, vcc, v1, v10
	v_mul_hi_u32 v14, v8, v1
	s_nop 0
	v_addc_co_u32_e32 v3, vcc, v3, v11, vcc
	v_mad_u64_u32 v[10:11], s[2:3], v8, v3, 0
	v_mov_b32_e32 v15, v6
	v_lshl_add_u64 v[10:11], v[14:15], 0, v[10:11]
	v_mad_u64_u32 v[16:17], s[2:3], v9, v1, 0
	v_add_co_u32_e32 v1, vcc, v10, v16
	v_mad_u64_u32 v[14:15], s[2:3], v9, v3, 0
	s_nop 0
	v_addc_co_u32_e32 v10, vcc, v11, v17, vcc
	v_mov_b32_e32 v11, v6
	s_nop 0
	v_addc_co_u32_e32 v15, vcc, 0, v15, vcc
	v_lshl_add_u64 v[10:11], v[10:11], 0, v[14:15]
	v_mul_lo_u32 v1, s25, v10
	v_mul_lo_u32 v3, s24, v11
	v_mad_u64_u32 v[14:15], s[2:3], s24, v10, 0
	v_add3_u32 v1, v15, v3, v1
	v_sub_u32_e32 v3, v9, v1
	v_mov_b32_e32 v7, s25
	v_sub_co_u32_e32 v18, vcc, v8, v14
	v_lshl_add_u64 v[16:17], v[10:11], 0, 1
	s_nop 0
	v_subb_co_u32_e64 v3, s[2:3], v3, v7, vcc
	v_subrev_co_u32_e64 v7, s[2:3], s24, v18
	v_subb_co_u32_e32 v1, vcc, v9, v1, vcc
	s_nop 0
	v_subbrev_co_u32_e64 v3, s[2:3], 0, v3, s[2:3]
	v_cmp_le_u32_e64 s[2:3], s25, v3
	v_cmp_le_u32_e32 vcc, s25, v1
	s_nop 0
	v_cndmask_b32_e64 v14, 0, -1, s[2:3]
	v_cmp_le_u32_e64 s[2:3], s24, v7
	s_nop 1
	v_cndmask_b32_e64 v7, 0, -1, s[2:3]
	v_cmp_eq_u32_e64 s[2:3], s25, v3
	s_nop 1
	v_cndmask_b32_e64 v3, v14, v7, s[2:3]
	v_lshl_add_u64 v[14:15], v[10:11], 0, 2
	v_cmp_ne_u32_e64 s[2:3], 0, v3
	v_cndmask_b32_e64 v7, 0, -1, vcc
	v_cmp_le_u32_e32 vcc, s24, v18
	v_cndmask_b32_e64 v3, v17, v15, s[2:3]
	s_nop 0
	v_cndmask_b32_e64 v15, 0, -1, vcc
	v_cmp_eq_u32_e32 vcc, s25, v1
	s_nop 1
	v_cndmask_b32_e32 v1, v7, v15, vcc
	v_cmp_ne_u32_e32 vcc, 0, v1
	v_cndmask_b32_e64 v1, v16, v14, s[2:3]
	s_nop 0
	v_cndmask_b32_e32 v15, v11, v3, vcc
	v_cndmask_b32_e32 v14, v10, v1, vcc
.LBB0_4:                                ;   in Loop: Header=BB0_2 Depth=1
	s_andn2_saveexec_b64 s[2:3], s[26:27]
	s_cbranch_execz .LBB0_6
; %bb.5:                                ;   in Loop: Header=BB0_2 Depth=1
	v_cvt_f32_u32_e32 v1, s24
	s_sub_i32 s26, 0, s24
	v_mov_b32_e32 v15, v6
	v_rcp_iflag_f32_e32 v1, v1
	s_nop 0
	v_mul_f32_e32 v1, 0x4f7ffffe, v1
	v_cvt_u32_f32_e32 v1, v1
	v_mul_lo_u32 v3, s26, v1
	v_mul_hi_u32 v3, v1, v3
	v_add_u32_e32 v1, v1, v3
	v_mul_hi_u32 v1, v8, v1
	v_mul_lo_u32 v3, v1, s24
	v_sub_u32_e32 v3, v8, v3
	v_add_u32_e32 v7, 1, v1
	v_subrev_u32_e32 v10, s24, v3
	v_cmp_le_u32_e32 vcc, s24, v3
	s_nop 1
	v_cndmask_b32_e32 v3, v3, v10, vcc
	v_cndmask_b32_e32 v1, v1, v7, vcc
	v_add_u32_e32 v7, 1, v1
	v_cmp_le_u32_e32 vcc, s24, v3
	s_nop 1
	v_cndmask_b32_e32 v14, v1, v7, vcc
.LBB0_6:                                ;   in Loop: Header=BB0_2 Depth=1
	s_or_b64 exec, exec, s[2:3]
	v_mad_u64_u32 v[10:11], s[2:3], v14, s24, 0
	s_load_dwordx2 s[2:3], s[18:19], 0x0
	s_add_u32 s22, s22, 1
	v_mul_lo_u32 v1, v15, s24
	v_mul_lo_u32 v3, v14, s25
	s_load_dwordx2 s[24:25], s[16:17], 0x0
	s_addc_u32 s23, s23, 0
	v_add3_u32 v1, v11, v3, v1
	v_sub_co_u32_e32 v3, vcc, v8, v10
	s_add_u32 s16, s16, 8
	s_nop 0
	v_subb_co_u32_e32 v1, vcc, v9, v1, vcc
	s_addc_u32 s17, s17, 0
	s_waitcnt lgkmcnt(0)
	v_mul_lo_u32 v7, s2, v1
	v_mul_lo_u32 v8, s3, v3
	v_mad_u64_u32 v[4:5], s[2:3], s2, v3, v[4:5]
	s_add_u32 s18, s18, 8
	v_add3_u32 v5, v8, v5, v7
	s_addc_u32 s19, s19, 0
	v_mov_b64_e32 v[8:9], s[10:11]
	v_mul_lo_u32 v1, s24, v1
	v_mul_lo_u32 v7, s25, v3
	v_mad_u64_u32 v[12:13], s[2:3], s24, v3, v[12:13]
	s_add_u32 s20, s20, 8
	v_cmp_ge_u64_e32 vcc, s[22:23], v[8:9]
	v_add3_u32 v13, v7, v13, v1
	s_addc_u32 s21, s21, 0
	s_cbranch_vccnz .LBB0_8
; %bb.7:                                ;   in Loop: Header=BB0_2 Depth=1
	v_mov_b64_e32 v[8:9], v[14:15]
	s_branch .LBB0_2
.LBB0_8:
	s_load_dwordx2 s[0:1], s[0:1], 0x28
	s_lshl_b64 s[10:11], s[10:11], 3
	s_add_u32 s2, s14, s10
	s_addc_u32 s3, s15, s11
                                        ; implicit-def: $sgpr16
                                        ; implicit-def: $sgpr14_sgpr15
                                        ; implicit-def: $vgpr18
	s_waitcnt lgkmcnt(0)
	v_cmp_gt_u64_e32 vcc, s[0:1], v[14:15]
	v_cmp_le_u64_e64 s[0:1], s[0:1], v[14:15]
	s_and_saveexec_b64 s[18:19], s[0:1]
	s_xor_b64 s[0:1], exec, s[18:19]
; %bb.9:
	s_mov_b32 s14, 0x7507508
	v_mul_hi_u32 v1, v0, s14
	v_mul_u32_u24_e32 v1, 35, v1
	v_sub_u32_e32 v18, v0, v1
	s_mov_b64 s[14:15], 0
	s_mov_b32 s16, 0
                                        ; implicit-def: $vgpr0
                                        ; implicit-def: $vgpr4_vgpr5
; %bb.10:
	s_or_saveexec_b64 s[0:1], s[0:1]
	v_mov_b64_e32 v[16:17], s[14:15]
	v_mov_b32_e32 v8, s16
	v_mov_b64_e32 v[6:7], s[14:15]
	v_mov_b32_e32 v9, s16
	v_mov_b32_e32 v10, s16
	;; [unrolled: 1-line block ×5, first 2 shown]
                                        ; implicit-def: $vgpr26
                                        ; implicit-def: $vgpr24
                                        ; implicit-def: $vgpr22
	s_xor_b64 exec, exec, s[0:1]
	s_cbranch_execz .LBB0_12
; %bb.11:
	s_add_u32 s10, s12, s10
	s_addc_u32 s11, s13, s11
	s_load_dwordx2 s[10:11], s[10:11], 0x0
	s_mov_b32 s12, 0x7507508
	v_mov_b32_e32 v19, 0
	s_waitcnt lgkmcnt(0)
	v_mul_lo_u32 v1, s11, v14
	v_mul_lo_u32 v3, s10, v15
	v_mad_u64_u32 v[6:7], s[10:11], s10, v14, 0
	v_add3_u32 v7, v7, v3, v1
	v_mul_hi_u32 v1, v0, s12
	v_mul_u32_u24_e32 v1, 35, v1
	v_sub_u32_e32 v18, v0, v1
	v_lshl_add_u64 v[0:1], v[6:7], 3, s[4:5]
	v_lshl_add_u64 v[0:1], v[4:5], 3, v[0:1]
	v_lshlrev_b32_e32 v4, 3, v18
	v_mov_b32_e32 v5, v19
	v_lshl_add_u64 v[0:1], v[0:1], 0, v[4:5]
	global_load_dwordx2 v[6:7], v[0:1], off
	global_load_dwordx2 v[8:9], v[0:1], off offset:280
	global_load_dwordx2 v[10:11], v[0:1], off offset:560
	global_load_dwordx2 v[22:23], v[0:1], off offset:840
	global_load_dwordx2 v[20:21], v[0:1], off offset:1120
	global_load_dwordx2 v[24:25], v[0:1], off offset:1400
	global_load_dwordx2 v[26:27], v[0:1], off offset:1680
	v_mov_b64_e32 v[16:17], v[18:19]
.LBB0_12:
	s_or_b64 exec, exec, s[0:1]
	s_mov_b32 s0, 0x24924925
	v_mul_hi_u32 v0, v2, s0
	v_sub_u32_e32 v1, v2, v0
	v_lshrrev_b32_e32 v1, 1, v1
	v_add_u32_e32 v0, v1, v0
	v_lshrrev_b32_e32 v0, 2, v0
	v_mul_lo_u32 v0, v0, 7
	v_sub_u32_e32 v0, v2, v0
	v_mul_u32_u24_e32 v32, 0xf5, v0
	s_waitcnt vmcnt(0)
	v_pk_add_f32 v[0:1], v[26:27], v[8:9]
	v_pk_add_f32 v[4:5], v[24:25], v[10:11]
	v_pk_add_f32 v[2:3], v[8:9], v[26:27] neg_lo:[0,1] neg_hi:[0,1]
	v_pk_add_f32 v[8:9], v[10:11], v[24:25] neg_lo:[0,1] neg_hi:[0,1]
	v_pk_add_f32 v[10:11], v[22:23], v[20:21]
	v_pk_add_f32 v[20:21], v[20:21], v[22:23] neg_lo:[0,1] neg_hi:[0,1]
	v_pk_add_f32 v[22:23], v[0:1], v[4:5]
	v_pk_add_f32 v[24:25], v[4:5], v[0:1] neg_lo:[0,1] neg_hi:[0,1]
	v_pk_add_f32 v[0:1], v[0:1], v[10:11] neg_lo:[0,1] neg_hi:[0,1]
	v_pk_add_f32 v[22:23], v[22:23], v[10:11]
	s_mov_b32 s4, 0x3f4a47b2
	v_sub_f32_e32 v5, v11, v5
	v_pk_add_f32 v[26:27], v[8:9], v[20:21] op_sel:[1,1] op_sel_hi:[0,0]
	v_pk_add_f32 v[28:29], v[2:3], v[20:21] op_sel:[1,1] op_sel_hi:[0,0] neg_lo:[0,1] neg_hi:[0,1]
	v_pk_add_f32 v[6:7], v[22:23], v[6:7]
	s_mov_b32 s0, 0xbf955555
	v_pk_mul_f32 v[0:1], v[0:1], s[4:5] op_sel_hi:[1,0]
	s_mov_b32 s14, 0xbeae86e6
	v_sub_f32_e32 v19, v20, v8
	v_pk_add_f32 v[30:31], v[8:9], v[2:3] op_sel:[1,1] op_sel_hi:[0,0] neg_lo:[0,1] neg_hi:[0,1]
	v_pk_add_f32 v[2:3], v[2:3], v[26:27] op_sel:[1,0] op_sel_hi:[0,1]
	v_mul_f32_e32 v27, 0x3d64c772, v5
	s_mov_b32 s10, 0x3f3bfb3b
	s_mov_b32 s12, 0xbee1c552
	v_pk_mul_f32 v[36:37], v[28:29], s[14:15] op_sel_hi:[1,0]
	v_pk_fma_f32 v[22:23], v[22:23], s[0:1], v[6:7] op_sel_hi:[1,0,1]
	v_fmamk_f32 v5, v5, 0x3d64c772, v1
	s_mov_b32 s4, 0x3d64c772
	v_pk_mul_f32 v[34:35], v[2:3], s[12:13] op_sel_hi:[1,0]
	v_pk_fma_f32 v[42:43], v[24:25], s[10:11], v[0:1] op_sel_hi:[1,0,1] neg_lo:[1,0,1] neg_hi:[1,0,1]
	v_fmamk_f32 v1, v19, 0x3f08b237, v37
	v_add_f32_e32 v37, v5, v23
	v_mov_b32_e32 v11, v21
	v_mov_b32_e32 v5, v9
	s_mov_b32 s5, 0x3f08b237
	s_mov_b32 s16, 0xbf5ff5aa
	v_add_f32_e32 v35, v1, v35
	v_pk_add_f32 v[4:5], v[10:11], v[4:5] neg_lo:[0,1] neg_hi:[0,1]
	v_mov_b32_e32 v1, v36
	v_pk_mul_f32 v[40:41], v[30:31], s[16:17] op_sel_hi:[1,0]
	v_pk_mul_f32 v[8:9], v[4:5], s[4:5]
	v_pk_fma_f32 v[0:1], v[4:5], s[4:5], v[0:1]
	v_mov_b32_e32 v4, v22
	v_mov_b32_e32 v5, v34
	v_mul_f32_e32 v39, 0x3f08b237, v19
	v_pk_fma_f32 v[28:29], v[28:29], s[14:15], v[40:41] op_sel_hi:[1,0,1] neg_lo:[1,0,1] neg_hi:[1,0,1]
	v_pk_add_f32 v[4:5], v[0:1], v[4:5]
	v_lshl_add_u32 v19, v32, 3, 0
	v_pk_add_f32 v[40:41], v[42:43], v[22:23]
	v_pk_fma_f32 v[0:1], v[2:3], s[12:13], v[28:29] op_sel_hi:[1,0,1]
	v_mad_u32_u24 v28, v18, 56, v19
	v_mov_b32_e32 v36, v4
	v_mov_b32_e32 v34, v5
	v_pk_add_f32 v[20:21], v[40:41], v[0:1] neg_lo:[0,1] neg_hi:[0,1]
	v_pk_add_f32 v[0:1], v[40:41], v[0:1]
	ds_write_b64 v28, v[6:7]
	v_pk_add_f32 v[6:7], v[4:5], v[34:35]
	v_pk_add_f32 v[10:11], v[36:37], v[34:35] neg_lo:[0,1] neg_hi:[0,1]
	v_mov_b32_e32 v26, v8
	v_mov_b32_e32 v7, v11
	;; [unrolled: 1-line block ×5, first 2 shown]
	ds_write2_b64 v28, v[6:7], v[10:11] offset0:1 offset1:2
	v_pk_fma_f32 v[6:7], v[24:25], s[10:11], v[26:27] op_sel_hi:[1,0,1] neg_lo:[0,0,1] neg_hi:[0,0,1]
	v_pk_fma_f32 v[8:9], v[30:31], s[16:17], v[38:39] op_sel_hi:[1,0,1] neg_lo:[0,0,1] neg_hi:[0,0,1]
	v_pk_add_f32 v[6:7], v[6:7], v[22:23]
	v_pk_fma_f32 v[2:3], v[2:3], s[12:13], v[8:9] op_sel_hi:[1,0,1]
	v_mov_b32_e32 v21, v1
	v_pk_add_f32 v[8:9], v[6:7], v[2:3] neg_lo:[0,1] neg_hi:[0,1]
	v_pk_add_f32 v[2:3], v[6:7], v[2:3]
	v_mov_b32_e32 v6, v8
	v_mov_b32_e32 v7, v3
	;; [unrolled: 1-line block ×3, first 2 shown]
	ds_write2_b64 v28, v[6:7], v[2:3] offset0:3 offset1:4
	v_mov_b32_e32 v2, v4
	v_mov_b32_e32 v3, v35
	v_mov_b32_e32 v35, v37
	v_pk_add_f32 v[22:23], v[4:5], v[34:35] neg_lo:[0,1] neg_hi:[0,1]
	v_pk_add_f32 v[2:3], v[2:3], v[34:35]
	s_movk_i32 s0, 0xffd0
	v_mov_b32_e32 v23, v3
	ds_write2_b64 v28, v[20:21], v[22:23] offset0:5 offset1:6
	v_lshl_add_u32 v19, v18, 3, v19
	v_mad_i32_i24 v21, v18, s0, v28
	s_load_dwordx2 s[2:3], s[2:3], 0x0
	s_waitcnt lgkmcnt(0)
	s_barrier
	ds_read_b64 v[30:31], v19
	ds_read2_b64 v[8:11], v21 offset0:49 offset1:98
	ds_read2_b64 v[4:7], v21 offset0:147 offset1:196
	v_cmp_gt_u32_e64 s[0:1], 14, v18
                                        ; implicit-def: $vgpr25
                                        ; implicit-def: $vgpr29
                                        ; implicit-def: $vgpr26
	s_and_saveexec_b64 s[4:5], s[0:1]
	s_cbranch_execz .LBB0_14
; %bb.13:
	ds_read2_b64 v[0:3], v21 offset0:35 offset1:84
	v_add_u32_e32 v20, 0x400, v21
	ds_read_b64 v[28:29], v21 offset:1064
	ds_read_b64 v[26:27], v21 offset:1848
	ds_read2_b32 v[24:25], v20 offset0:108 offset1:109
	s_waitcnt lgkmcnt(3)
	v_mov_b32_e32 v22, v2
	v_mov_b32_e32 v20, v0
.LBB0_14:
	s_or_b64 exec, exec, s[4:5]
	v_mov_b32_e32 v21, 37
	v_mul_lo_u16_sdwa v0, v18, v21 dst_sel:DWORD dst_unused:UNUSED_PAD src0_sel:BYTE_0 src1_sel:DWORD
	v_sub_u16_sdwa v2, v18, v0 dst_sel:DWORD dst_unused:UNUSED_PAD src0_sel:DWORD src1_sel:BYTE_1
	v_lshrrev_b16_e32 v2, 1, v2
	v_and_b32_e32 v2, 0x7f, v2
	v_add_u16_sdwa v0, v2, v0 dst_sel:DWORD dst_unused:UNUSED_PAD src0_sel:DWORD src1_sel:BYTE_1
	v_lshrrev_b16_e32 v33, 2, v0
	v_mul_lo_u16_e32 v0, 7, v33
	v_sub_u16_e32 v42, v18, v0
	v_mov_b32_e32 v23, 5
	v_lshlrev_b32_sdwa v0, v23, v42 dst_sel:DWORD dst_unused:UNUSED_PAD src0_sel:DWORD src1_sel:BYTE_0
	global_load_dwordx4 v[34:37], v0, s[8:9]
	global_load_dwordx4 v[38:41], v0, s[8:9] offset:16
	s_movk_i32 s5, 0x118
	v_mov_b32_e32 v2, 3
	v_lshlrev_b32_e32 v0, 3, v32
	v_mad_u32_u24 v32, v33, s5, 0
	v_lshlrev_b32_sdwa v33, v2, v42 dst_sel:DWORD dst_unused:UNUSED_PAD src0_sel:DWORD src1_sel:BYTE_0
	v_add3_u32 v50, v32, v33, v0
	s_mov_b32 s10, 0x3f737871
	s_mov_b32 s12, 0x3f167918
	;; [unrolled: 1-line block ×3, first 2 shown]
	s_waitcnt lgkmcnt(0)
	s_barrier
	s_waitcnt vmcnt(1)
	v_pk_mul_f32 v[32:33], v[34:35], v[8:9] op_sel:[0,1]
	v_pk_mul_f32 v[42:43], v[36:37], v[10:11] op_sel:[0,1]
	s_waitcnt vmcnt(0)
	v_pk_mul_f32 v[44:45], v[38:39], v[4:5] op_sel:[0,1]
	v_pk_mul_f32 v[46:47], v[40:41], v[6:7] op_sel:[0,1]
	v_pk_fma_f32 v[48:49], v[34:35], v[8:9], v[32:33] op_sel:[0,0,1] op_sel_hi:[1,1,0]
	v_pk_fma_f32 v[8:9], v[34:35], v[8:9], v[32:33] op_sel:[0,0,1] op_sel_hi:[1,0,0] neg_lo:[1,0,0] neg_hi:[1,0,0]
	v_pk_fma_f32 v[32:33], v[36:37], v[10:11], v[42:43] op_sel:[0,0,1] op_sel_hi:[1,1,0]
	v_pk_fma_f32 v[10:11], v[36:37], v[10:11], v[42:43] op_sel:[0,0,1] op_sel_hi:[1,0,0] neg_lo:[1,0,0] neg_hi:[1,0,0]
	v_pk_fma_f32 v[34:35], v[38:39], v[4:5], v[44:45] op_sel:[0,0,1] op_sel_hi:[1,1,0]
	v_pk_fma_f32 v[4:5], v[38:39], v[4:5], v[44:45] op_sel:[0,0,1] op_sel_hi:[1,0,0] neg_lo:[1,0,0] neg_hi:[1,0,0]
	v_pk_fma_f32 v[36:37], v[40:41], v[6:7], v[46:47] op_sel:[0,0,1] op_sel_hi:[1,1,0]
	v_pk_fma_f32 v[6:7], v[40:41], v[6:7], v[46:47] op_sel:[0,0,1] op_sel_hi:[1,0,0] neg_lo:[1,0,0] neg_hi:[1,0,0]
	v_mov_b32_e32 v49, v9
	v_mov_b32_e32 v33, v11
	;; [unrolled: 1-line block ×4, first 2 shown]
	v_pk_add_f32 v[4:5], v[30:31], v[48:49]
	v_pk_add_f32 v[6:7], v[32:33], v[34:35]
	v_pk_add_f32 v[8:9], v[48:49], v[36:37] neg_lo:[0,1] neg_hi:[0,1]
	v_pk_add_f32 v[10:11], v[32:33], v[34:35] neg_lo:[0,1] neg_hi:[0,1]
	v_pk_add_f32 v[38:39], v[48:49], v[32:33] neg_lo:[0,1] neg_hi:[0,1]
	v_pk_add_f32 v[42:43], v[48:49], v[36:37]
	v_pk_add_f32 v[44:45], v[32:33], v[48:49] neg_lo:[0,1] neg_hi:[0,1]
	v_pk_add_f32 v[4:5], v[4:5], v[32:33]
	v_pk_fma_f32 v[6:7], v[6:7], 0.5, v[30:31] op_sel_hi:[1,0,1] neg_lo:[1,0,0] neg_hi:[1,0,0]
	v_pk_mul_f32 v[32:33], v[8:9], s[10:11] op_sel_hi:[1,0]
	v_pk_add_f32 v[40:41], v[36:37], v[34:35] neg_lo:[0,1] neg_hi:[0,1]
	v_pk_add_f32 v[46:47], v[34:35], v[36:37] neg_lo:[0,1] neg_hi:[0,1]
	v_pk_mul_f32 v[48:49], v[10:11], s[12:13] op_sel_hi:[1,0]
	v_pk_fma_f32 v[30:31], v[42:43], 0.5, v[30:31] op_sel_hi:[1,0,1] neg_lo:[1,0,0] neg_hi:[1,0,0]
	v_pk_mul_f32 v[10:11], v[10:11], s[10:11] op_sel_hi:[1,0]
	v_pk_add_f32 v[4:5], v[4:5], v[34:35]
	v_pk_add_f32 v[34:35], v[6:7], v[32:33] op_sel:[0,1] op_sel_hi:[1,0] neg_lo:[0,1] neg_hi:[0,1]
	v_pk_add_f32 v[6:7], v[6:7], v[32:33] op_sel:[0,1] op_sel_hi:[1,0]
	v_pk_mul_f32 v[8:9], v[8:9], s[12:13] op_sel_hi:[1,0]
	v_pk_add_f32 v[32:33], v[30:31], v[10:11] op_sel:[0,1] op_sel_hi:[1,0]
	v_pk_add_f32 v[10:11], v[30:31], v[10:11] op_sel:[0,1] op_sel_hi:[1,0] neg_lo:[0,1] neg_hi:[0,1]
	v_pk_add_f32 v[6:7], v[6:7], v[48:49] op_sel:[0,1] op_sel_hi:[1,0]
	v_pk_add_f32 v[30:31], v[34:35], v[48:49] op_sel:[0,1] op_sel_hi:[1,0] neg_lo:[0,1] neg_hi:[0,1]
	v_pk_add_f32 v[38:39], v[38:39], v[40:41]
	v_pk_add_f32 v[10:11], v[10:11], v[8:9] op_sel:[0,1] op_sel_hi:[1,0]
	v_pk_add_f32 v[8:9], v[32:33], v[8:9] op_sel:[0,1] op_sel_hi:[1,0] neg_lo:[0,1] neg_hi:[0,1]
	v_mov_b32_e32 v32, v30
	v_mov_b32_e32 v33, v7
	v_pk_add_f32 v[40:41], v[44:45], v[46:47]
	v_pk_add_f32 v[4:5], v[4:5], v[36:37]
	v_mov_b32_e32 v34, v8
	v_mov_b32_e32 v35, v11
	v_mov_b32_e32 v11, v9
	v_mov_b32_e32 v7, v31
	v_pk_fma_f32 v[8:9], v[38:39], s[4:5], v[32:33] op_sel_hi:[1,0,1]
	v_pk_fma_f32 v[30:31], v[40:41], s[4:5], v[34:35] op_sel_hi:[1,0,1]
	;; [unrolled: 1-line block ×4, first 2 shown]
	ds_write2_b64 v50, v[4:5], v[8:9] offset1:7
	ds_write2_b64 v50, v[30:31], v[10:11] offset0:14 offset1:21
	ds_write_b64 v50, v[6:7] offset:224
	s_and_saveexec_b64 s[14:15], s[0:1]
	s_cbranch_execz .LBB0_16
; %bb.15:
	v_add_u16_e32 v4, 35, v18
	v_mul_lo_u16_sdwa v5, v4, v21 dst_sel:DWORD dst_unused:UNUSED_PAD src0_sel:BYTE_0 src1_sel:DWORD
	v_sub_u16_sdwa v6, v4, v5 dst_sel:DWORD dst_unused:UNUSED_PAD src0_sel:DWORD src1_sel:BYTE_1
	v_lshrrev_b16_e32 v6, 1, v6
	v_and_b32_e32 v6, 0x7f, v6
	v_add_u16_sdwa v5, v6, v5 dst_sel:DWORD dst_unused:UNUSED_PAD src0_sel:DWORD src1_sel:BYTE_1
	v_lshrrev_b16_e32 v31, 2, v5
	v_mul_lo_u16_e32 v5, 7, v31
	v_sub_u16_e32 v33, v4, v5
	v_lshlrev_b32_sdwa v21, v23, v33 dst_sel:DWORD dst_unused:UNUSED_PAD src0_sel:DWORD src1_sel:BYTE_0
	global_load_dwordx4 v[4:7], v21, s[8:9]
	global_load_dwordx4 v[8:11], v21, s[8:9] offset:16
	v_mov_b32_e32 v21, v1
	v_mov_b32_e32 v30, v29
	;; [unrolled: 1-line block ×5, first 2 shown]
	v_mad_u32_u24 v1, v31, s5, 0
	v_lshlrev_b32_sdwa v2, v2, v33 dst_sel:DWORD dst_unused:UNUSED_PAD src0_sel:DWORD src1_sel:BYTE_0
	v_add3_u32 v1, v1, v2, v0
	s_waitcnt vmcnt(1)
	v_pk_mul_f32 v[2:3], v[30:31], v[6:7] op_sel_hi:[0,1]
	v_pk_mul_f32 v[30:31], v[32:33], v[4:5] op_sel_hi:[0,1]
	s_waitcnt vmcnt(0)
	v_pk_mul_f32 v[32:33], v[34:35], v[8:9] op_sel_hi:[0,1]
	v_pk_mul_f32 v[34:35], v[36:37], v[10:11] op_sel_hi:[0,1]
	v_pk_fma_f32 v[36:37], v[28:29], v[6:7], v[2:3] op_sel:[0,0,1] op_sel_hi:[1,1,0]
	v_pk_fma_f32 v[2:3], v[28:29], v[6:7], v[2:3] op_sel:[0,0,1] op_sel_hi:[0,1,0] neg_lo:[1,0,0] neg_hi:[1,0,0]
	v_pk_fma_f32 v[6:7], v[22:23], v[4:5], v[30:31] op_sel:[0,0,1] op_sel_hi:[1,1,0]
	v_pk_fma_f32 v[4:5], v[22:23], v[4:5], v[30:31] op_sel:[0,0,1] op_sel_hi:[0,1,0] neg_lo:[1,0,0] neg_hi:[1,0,0]
	;; [unrolled: 2-line block ×4, first 2 shown]
	v_mov_b32_e32 v37, v3
	v_mov_b32_e32 v7, v5
	;; [unrolled: 1-line block ×4, first 2 shown]
	v_pk_add_f32 v[8:9], v[6:7], v[24:25] neg_lo:[0,1] neg_hi:[0,1]
	v_pk_add_f32 v[10:11], v[36:37], v[22:23]
	v_pk_add_f32 v[2:3], v[20:21], v[6:7]
	v_pk_add_f32 v[4:5], v[36:37], v[22:23] neg_lo:[0,1] neg_hi:[0,1]
	v_pk_add_f32 v[26:27], v[6:7], v[36:37] neg_lo:[0,1] neg_hi:[0,1]
	;; [unrolled: 1-line block ×3, first 2 shown]
	v_pk_add_f32 v[6:7], v[6:7], v[24:25]
	v_pk_fma_f32 v[10:11], v[10:11], 0.5, v[20:21] op_sel_hi:[1,0,1] neg_lo:[1,0,0] neg_hi:[1,0,0]
	v_pk_mul_f32 v[34:35], v[8:9], s[10:11] op_sel_hi:[1,0]
	v_pk_add_f32 v[2:3], v[2:3], v[36:37]
	v_pk_mul_f32 v[36:37], v[4:5], s[12:13] op_sel_hi:[1,0]
	v_pk_fma_f32 v[6:7], v[6:7], 0.5, v[20:21] op_sel_hi:[1,0,1] neg_lo:[1,0,0] neg_hi:[1,0,0]
	v_pk_mul_f32 v[4:5], v[4:5], s[10:11] op_sel_hi:[1,0]
	v_pk_add_f32 v[20:21], v[10:11], v[34:35] op_sel:[0,1] op_sel_hi:[1,0] neg_lo:[0,1] neg_hi:[0,1]
	v_pk_add_f32 v[10:11], v[10:11], v[34:35] op_sel:[0,1] op_sel_hi:[1,0]
	v_pk_add_f32 v[28:29], v[24:25], v[22:23] neg_lo:[0,1] neg_hi:[0,1]
	v_pk_add_f32 v[32:33], v[22:23], v[24:25] neg_lo:[0,1] neg_hi:[0,1]
	v_pk_mul_f32 v[8:9], v[8:9], s[12:13] op_sel_hi:[1,0]
	v_pk_add_f32 v[2:3], v[2:3], v[22:23]
	v_pk_add_f32 v[22:23], v[6:7], v[4:5] op_sel:[0,1] op_sel_hi:[1,0]
	v_pk_add_f32 v[4:5], v[6:7], v[4:5] op_sel:[0,1] op_sel_hi:[1,0] neg_lo:[0,1] neg_hi:[0,1]
	v_pk_add_f32 v[6:7], v[10:11], v[36:37] op_sel:[0,1] op_sel_hi:[1,0]
	v_pk_add_f32 v[10:11], v[20:21], v[36:37] op_sel:[0,1] op_sel_hi:[1,0] neg_lo:[0,1] neg_hi:[0,1]
	v_pk_add_f32 v[26:27], v[26:27], v[28:29]
	v_pk_add_f32 v[4:5], v[4:5], v[8:9] op_sel:[0,1] op_sel_hi:[1,0]
	v_pk_add_f32 v[8:9], v[22:23], v[8:9] op_sel:[0,1] op_sel_hi:[1,0] neg_lo:[0,1] neg_hi:[0,1]
	v_mov_b32_e32 v20, v10
	v_mov_b32_e32 v21, v7
	v_pk_add_f32 v[28:29], v[30:31], v[32:33]
	v_pk_add_f32 v[2:3], v[2:3], v[24:25]
	v_mov_b32_e32 v22, v8
	v_mov_b32_e32 v23, v5
	;; [unrolled: 1-line block ×4, first 2 shown]
	v_pk_fma_f32 v[8:9], v[26:27], s[4:5], v[20:21] op_sel_hi:[1,0,1]
	v_pk_fma_f32 v[10:11], v[28:29], s[4:5], v[22:23] op_sel_hi:[1,0,1]
	v_pk_fma_f32 v[4:5], v[28:29], s[4:5], v[4:5] op_sel_hi:[1,0,1]
	v_pk_fma_f32 v[6:7], v[26:27], s[4:5], v[6:7] op_sel_hi:[1,0,1]
	ds_write2_b64 v1, v[2:3], v[8:9] offset1:7
	ds_write2_b64 v1, v[10:11], v[4:5] offset0:14 offset1:21
	ds_write_b64 v1, v[6:7] offset:224
.LBB0_16:
	s_or_b64 exec, exec, s[14:15]
	s_waitcnt lgkmcnt(0)
	s_barrier
	s_and_saveexec_b64 s[0:1], vcc
	s_cbranch_execz .LBB0_18
; %bb.17:
	v_mul_u32_u24_e32 v1, 6, v18
	v_lshlrev_b32_e32 v1, 3, v1
	global_load_dwordx4 v[2:5], v1, s[8:9] offset:224
	global_load_dwordx4 v[6:9], v1, s[8:9] offset:256
	;; [unrolled: 1-line block ×3, first 2 shown]
	v_lshlrev_b32_e32 v18, 3, v18
	v_mul_lo_u32 v1, s3, v14
	v_mul_lo_u32 v24, s2, v15
	v_mad_u64_u32 v[10:11], s[0:1], s2, v14, 0
	v_add3_u32 v0, 0, v18, v0
	ds_read_b64 v[14:15], v19
	v_add3_u32 v11, v11, v24, v1
	ds_read2_b64 v[24:27], v0 offset0:35 offset1:70
	ds_read2_b64 v[28:31], v0 offset0:105 offset1:140
	;; [unrolled: 1-line block ×3, first 2 shown]
	v_lshl_add_u64 v[0:1], v[10:11], 3, s[6:7]
	v_lshl_add_u64 v[0:1], v[12:13], 3, v[0:1]
	s_waitcnt lgkmcnt(2)
	v_mov_b32_e32 v13, v24
	s_waitcnt lgkmcnt(1)
	v_mov_b32_e32 v12, v31
	v_lshl_add_u64 v[0:1], v[16:17], 3, v[0:1]
	v_mov_b32_e32 v10, v30
	v_mov_b32_e32 v11, v25
	;; [unrolled: 1-line block ×3, first 2 shown]
	s_waitcnt lgkmcnt(0)
	v_mov_b32_e32 v17, v35
	v_mov_b32_e32 v18, v29
	;; [unrolled: 1-line block ×3, first 2 shown]
	s_mov_b32 s2, 0xbeae86e6
	s_mov_b32 s3, 0x3f08b237
	;; [unrolled: 1-line block ×5, first 2 shown]
	s_waitcnt vmcnt(2)
	v_mul_f32_e32 v24, v3, v24
	v_mul_f32_e32 v44, v5, v27
	s_waitcnt vmcnt(0)
	v_mul_f32_e32 v36, v23, v31
	v_mul_f32_e32 v31, v9, v34
	;; [unrolled: 1-line block ×5, first 2 shown]
	v_mov_b32_e32 v41, v8
	v_mov_b32_e32 v43, v2
	v_fma_f32 v37, v8, v35, -v31
	v_fma_f32 v31, v2, v25, -v24
	v_mov_b32_e32 v8, v21
	v_mov_b32_e32 v2, v23
	v_mul_f32_e32 v30, v22, v30
	v_mul_f32_e32 v28, v20, v28
	;; [unrolled: 1-line block ×3, first 2 shown]
	v_mov_b32_e32 v40, v20
	v_mov_b32_e32 v42, v22
	v_fma_f32 v39, v6, v33, -v7
	v_fma_f32 v29, v4, v27, -v5
	v_pk_mul_f32 v[8:9], v[8:9], v[16:17]
	v_pk_mul_f32 v[2:3], v[2:3], v[10:11]
	v_pk_add_f32 v[16:17], v[30:31], v[36:37]
	v_pk_add_f32 v[24:25], v[28:29], v[38:39]
	v_pk_fma_f32 v[20:21], v[20:21], v[18:19], v[8:9] neg_lo:[0,0,1] neg_hi:[0,0,1]
	v_pk_fma_f32 v[8:9], v[40:41], v[18:19], v[8:9]
	v_pk_fma_f32 v[18:19], v[22:23], v[12:13], v[2:3] neg_lo:[0,0,1] neg_hi:[0,0,1]
	v_pk_fma_f32 v[2:3], v[42:43], v[12:13], v[2:3]
	v_fmac_f32_e32 v44, v4, v26
	v_mov_b32_e32 v26, v29
	v_mov_b32_e32 v28, v39
	;; [unrolled: 1-line block ×6, first 2 shown]
	v_fmac_f32_e32 v45, v6, v32
	v_pk_add_f32 v[2:3], v[26:27], v[28:29] neg_lo:[0,1] neg_hi:[0,1]
	v_mov_b32_e32 v9, v18
	v_pk_add_f32 v[22:23], v[18:19], v[20:21]
	v_pk_add_f32 v[18:19], v[18:19], v[20:21] neg_lo:[0,1] neg_hi:[0,1]
	v_sub_f32_e32 v5, v44, v45
	v_add_f32_e32 v6, v44, v45
	v_sub_f32_e32 v10, v31, v37
	v_mov_b32_e32 v7, v20
	v_mov_b32_e32 v11, v3
	;; [unrolled: 1-line block ×4, first 2 shown]
	v_pk_add_f32 v[12:13], v[16:17], v[24:25]
	v_pk_add_f32 v[28:29], v[10:11], v[4:5] neg_lo:[0,1] neg_hi:[0,1]
	v_pk_add_f32 v[8:9], v[8:9], v[6:7]
	v_mov_b32_e32 v20, v18
	v_pk_add_f32 v[26:27], v[18:19], v[2:3] neg_lo:[0,1] neg_hi:[0,1]
	v_mov_b32_e32 v11, v19
	v_pk_mul_f32 v[18:19], v[28:29], s[2:3]
	v_pk_add_f32 v[28:29], v[8:9], v[12:13]
	v_mov_b32_e32 v8, v23
	v_mov_b32_e32 v13, v25
	s_mov_b32 s2, 0x3f4a47b2
	v_mov_b32_e32 v21, v3
	v_mov_b32_e32 v4, v2
	v_pk_add_f32 v[30:31], v[8:9], v[12:13] neg_lo:[0,1] neg_hi:[0,1]
	s_mov_b32 s3, 0x3d64c772
	v_mov_b32_e32 v13, v17
	v_mov_b32_e32 v7, v9
	v_pk_mul_f32 v[2:3], v[26:27], s[4:5]
	v_pk_add_f32 v[20:21], v[20:21], v[4:5]
	v_pk_fma_f32 v[26:27], v[26:27], s[4:5], v[18:19]
	v_pk_add_f32 v[14:15], v[28:29], v[14:15]
	v_pk_mul_f32 v[30:31], v[30:31], s[2:3]
	v_pk_add_f32 v[8:9], v[12:13], v[6:7] neg_lo:[0,1] neg_hi:[0,1]
	s_mov_b32 s4, s3
	s_mov_b32 s5, s2
	;; [unrolled: 1-line block ×3, first 2 shown]
	v_pk_add_f32 v[20:21], v[10:11], v[20:21]
	v_pk_mul_f32 v[12:13], v[8:9], s[4:5]
	v_pk_fma_f32 v[8:9], v[8:9], s[4:5], v[30:31]
	v_pk_fma_f32 v[28:29], v[28:29], s[2:3], v[14:15] op_sel_hi:[1,0,1]
	v_pk_fma_f32 v[26:27], v[20:21], s[0:1], v[26:27] op_sel_hi:[1,0,1]
	v_pk_add_f32 v[8:9], v[8:9], v[28:29]
	global_store_dwordx2 v[0:1], v[14:15], off
	v_pk_add_f32 v[32:33], v[8:9], v[26:27]
	v_pk_add_f32 v[8:9], v[8:9], v[26:27] neg_lo:[0,1] neg_hi:[0,1]
	v_mov_b32_e32 v14, v32
	v_mov_b32_e32 v15, v9
	;; [unrolled: 1-line block ×4, first 2 shown]
	global_store_dwordx2 v[0:1], v[14:15], off offset:280
	v_pk_add_f32 v[4:5], v[4:5], v[10:11] neg_lo:[0,1] neg_hi:[0,1]
	s_mov_b32 s2, 0xbf5ff5aa
	v_mov_b32_e32 v10, v18
	v_mov_b32_e32 v11, v3
	v_pk_add_f32 v[6:7], v[6:7], v[16:17] neg_lo:[0,1] neg_hi:[0,1]
	s_mov_b32 s4, 0x3f3bfb3b
	v_mov_b32_e32 v14, v30
	v_mov_b32_e32 v15, v13
	v_mov_b32_e32 v3, v19
	v_mov_b32_e32 v13, v31
	v_pk_fma_f32 v[10:11], v[4:5], s[2:3], v[10:11] op_sel_hi:[1,0,1] neg_lo:[1,0,1] neg_hi:[1,0,1]
	v_pk_fma_f32 v[14:15], v[6:7], s[4:5], v[14:15] op_sel_hi:[1,0,1] neg_lo:[1,0,1] neg_hi:[1,0,1]
	;; [unrolled: 1-line block ×4, first 2 shown]
	v_pk_fma_f32 v[10:11], v[20:21], s[0:1], v[10:11] op_sel_hi:[1,0,1]
	v_pk_add_f32 v[14:15], v[14:15], v[28:29]
	v_pk_fma_f32 v[2:3], v[20:21], s[0:1], v[2:3] op_sel_hi:[1,0,1]
	v_pk_add_f32 v[4:5], v[4:5], v[28:29]
	v_pk_add_f32 v[16:17], v[14:15], v[10:11]
	v_pk_add_f32 v[10:11], v[14:15], v[10:11] neg_lo:[0,1] neg_hi:[0,1]
	v_pk_add_f32 v[6:7], v[4:5], v[2:3] neg_lo:[0,1] neg_hi:[0,1]
	v_pk_add_f32 v[2:3], v[4:5], v[2:3]
	v_mov_b32_e32 v14, v16
	v_mov_b32_e32 v15, v11
	;; [unrolled: 1-line block ×7, first 2 shown]
	global_store_dwordx2 v[0:1], v[14:15], off offset:560
	global_store_dwordx2 v[0:1], v[4:5], off offset:840
	;; [unrolled: 1-line block ×5, first 2 shown]
.LBB0_18:
	s_endpgm
	.section	.rodata,"a",@progbits
	.p2align	6, 0x0
	.amdhsa_kernel fft_rtc_back_len245_factors_7_5_7_wgs_245_tpt_35_sp_op_CI_CI_unitstride_sbrr_dirReg
		.amdhsa_group_segment_fixed_size 0
		.amdhsa_private_segment_fixed_size 0
		.amdhsa_kernarg_size 104
		.amdhsa_user_sgpr_count 2
		.amdhsa_user_sgpr_dispatch_ptr 0
		.amdhsa_user_sgpr_queue_ptr 0
		.amdhsa_user_sgpr_kernarg_segment_ptr 1
		.amdhsa_user_sgpr_dispatch_id 0
		.amdhsa_user_sgpr_kernarg_preload_length 0
		.amdhsa_user_sgpr_kernarg_preload_offset 0
		.amdhsa_user_sgpr_private_segment_size 0
		.amdhsa_uses_dynamic_stack 0
		.amdhsa_enable_private_segment 0
		.amdhsa_system_sgpr_workgroup_id_x 1
		.amdhsa_system_sgpr_workgroup_id_y 0
		.amdhsa_system_sgpr_workgroup_id_z 0
		.amdhsa_system_sgpr_workgroup_info 0
		.amdhsa_system_vgpr_workitem_id 0
		.amdhsa_next_free_vgpr 51
		.amdhsa_next_free_sgpr 28
		.amdhsa_accum_offset 52
		.amdhsa_reserve_vcc 1
		.amdhsa_float_round_mode_32 0
		.amdhsa_float_round_mode_16_64 0
		.amdhsa_float_denorm_mode_32 3
		.amdhsa_float_denorm_mode_16_64 3
		.amdhsa_dx10_clamp 1
		.amdhsa_ieee_mode 1
		.amdhsa_fp16_overflow 0
		.amdhsa_tg_split 0
		.amdhsa_exception_fp_ieee_invalid_op 0
		.amdhsa_exception_fp_denorm_src 0
		.amdhsa_exception_fp_ieee_div_zero 0
		.amdhsa_exception_fp_ieee_overflow 0
		.amdhsa_exception_fp_ieee_underflow 0
		.amdhsa_exception_fp_ieee_inexact 0
		.amdhsa_exception_int_div_zero 0
	.end_amdhsa_kernel
	.text
.Lfunc_end0:
	.size	fft_rtc_back_len245_factors_7_5_7_wgs_245_tpt_35_sp_op_CI_CI_unitstride_sbrr_dirReg, .Lfunc_end0-fft_rtc_back_len245_factors_7_5_7_wgs_245_tpt_35_sp_op_CI_CI_unitstride_sbrr_dirReg
                                        ; -- End function
	.section	.AMDGPU.csdata,"",@progbits
; Kernel info:
; codeLenInByte = 4296
; NumSgprs: 34
; NumVgprs: 51
; NumAgprs: 0
; TotalNumVgprs: 51
; ScratchSize: 0
; MemoryBound: 0
; FloatMode: 240
; IeeeMode: 1
; LDSByteSize: 0 bytes/workgroup (compile time only)
; SGPRBlocks: 4
; VGPRBlocks: 6
; NumSGPRsForWavesPerEU: 34
; NumVGPRsForWavesPerEU: 51
; AccumOffset: 52
; Occupancy: 8
; WaveLimiterHint : 1
; COMPUTE_PGM_RSRC2:SCRATCH_EN: 0
; COMPUTE_PGM_RSRC2:USER_SGPR: 2
; COMPUTE_PGM_RSRC2:TRAP_HANDLER: 0
; COMPUTE_PGM_RSRC2:TGID_X_EN: 1
; COMPUTE_PGM_RSRC2:TGID_Y_EN: 0
; COMPUTE_PGM_RSRC2:TGID_Z_EN: 0
; COMPUTE_PGM_RSRC2:TIDIG_COMP_CNT: 0
; COMPUTE_PGM_RSRC3_GFX90A:ACCUM_OFFSET: 12
; COMPUTE_PGM_RSRC3_GFX90A:TG_SPLIT: 0
	.text
	.p2alignl 6, 3212836864
	.fill 256, 4, 3212836864
	.type	__hip_cuid_ecbc47c5374f4c78,@object ; @__hip_cuid_ecbc47c5374f4c78
	.section	.bss,"aw",@nobits
	.globl	__hip_cuid_ecbc47c5374f4c78
__hip_cuid_ecbc47c5374f4c78:
	.byte	0                               ; 0x0
	.size	__hip_cuid_ecbc47c5374f4c78, 1

	.ident	"AMD clang version 19.0.0git (https://github.com/RadeonOpenCompute/llvm-project roc-6.4.0 25133 c7fe45cf4b819c5991fe208aaa96edf142730f1d)"
	.section	".note.GNU-stack","",@progbits
	.addrsig
	.addrsig_sym __hip_cuid_ecbc47c5374f4c78
	.amdgpu_metadata
---
amdhsa.kernels:
  - .agpr_count:     0
    .args:
      - .actual_access:  read_only
        .address_space:  global
        .offset:         0
        .size:           8
        .value_kind:     global_buffer
      - .offset:         8
        .size:           8
        .value_kind:     by_value
      - .actual_access:  read_only
        .address_space:  global
        .offset:         16
        .size:           8
        .value_kind:     global_buffer
      - .actual_access:  read_only
        .address_space:  global
        .offset:         24
        .size:           8
        .value_kind:     global_buffer
      - .actual_access:  read_only
        .address_space:  global
        .offset:         32
        .size:           8
        .value_kind:     global_buffer
      - .offset:         40
        .size:           8
        .value_kind:     by_value
      - .actual_access:  read_only
        .address_space:  global
        .offset:         48
        .size:           8
        .value_kind:     global_buffer
      - .actual_access:  read_only
        .address_space:  global
        .offset:         56
        .size:           8
        .value_kind:     global_buffer
      - .offset:         64
        .size:           4
        .value_kind:     by_value
      - .actual_access:  read_only
        .address_space:  global
        .offset:         72
        .size:           8
        .value_kind:     global_buffer
      - .actual_access:  read_only
        .address_space:  global
        .offset:         80
        .size:           8
        .value_kind:     global_buffer
      - .actual_access:  read_only
        .address_space:  global
        .offset:         88
        .size:           8
        .value_kind:     global_buffer
      - .actual_access:  write_only
        .address_space:  global
        .offset:         96
        .size:           8
        .value_kind:     global_buffer
    .group_segment_fixed_size: 0
    .kernarg_segment_align: 8
    .kernarg_segment_size: 104
    .language:       OpenCL C
    .language_version:
      - 2
      - 0
    .max_flat_workgroup_size: 245
    .name:           fft_rtc_back_len245_factors_7_5_7_wgs_245_tpt_35_sp_op_CI_CI_unitstride_sbrr_dirReg
    .private_segment_fixed_size: 0
    .sgpr_count:     34
    .sgpr_spill_count: 0
    .symbol:         fft_rtc_back_len245_factors_7_5_7_wgs_245_tpt_35_sp_op_CI_CI_unitstride_sbrr_dirReg.kd
    .uniform_work_group_size: 1
    .uses_dynamic_stack: false
    .vgpr_count:     51
    .vgpr_spill_count: 0
    .wavefront_size: 64
amdhsa.target:   amdgcn-amd-amdhsa--gfx950
amdhsa.version:
  - 1
  - 2
...

	.end_amdgpu_metadata
